;; amdgpu-corpus repo=ROCm/rocFFT kind=compiled arch=gfx950 opt=O3
	.text
	.amdgcn_target "amdgcn-amd-amdhsa--gfx950"
	.amdhsa_code_object_version 6
	.protected	fft_rtc_fwd_len128_factors_16_8_wgs_256_tpt_16_half_ip_CI_sbcc_twdbase6_3step_dirReg ; -- Begin function fft_rtc_fwd_len128_factors_16_8_wgs_256_tpt_16_half_ip_CI_sbcc_twdbase6_3step_dirReg
	.globl	fft_rtc_fwd_len128_factors_16_8_wgs_256_tpt_16_half_ip_CI_sbcc_twdbase6_3step_dirReg
	.p2align	8
	.type	fft_rtc_fwd_len128_factors_16_8_wgs_256_tpt_16_half_ip_CI_sbcc_twdbase6_3step_dirReg,@function
fft_rtc_fwd_len128_factors_16_8_wgs_256_tpt_16_half_ip_CI_sbcc_twdbase6_3step_dirReg: ; @fft_rtc_fwd_len128_factors_16_8_wgs_256_tpt_16_half_ip_CI_sbcc_twdbase6_3step_dirReg
; %bb.0:
	s_load_dwordx8 s[4:11], s[0:1], 0x8
	s_movk_i32 s3, 0xc0
	v_cmp_gt_u32_e32 vcc, s3, v0
	s_and_saveexec_b64 s[12:13], vcc
	s_cbranch_execz .LBB0_2
; %bb.1:
	v_lshlrev_b32_e32 v1, 2, v0
	s_waitcnt lgkmcnt(0)
	global_load_dword v2, v1, s[4:5]
	v_add_u32_e32 v1, 0, v1
	s_waitcnt vmcnt(0)
	ds_write_b32 v1, v2 offset:8192
.LBB0_2:
	s_or_b64 exec, exec, s[12:13]
	s_waitcnt lgkmcnt(0)
	s_load_dwordx2 s[18:19], s[8:9], 0x8
	s_mov_b32 s3, 0
	s_mov_b64 s[24:25], 0
	s_waitcnt lgkmcnt(0)
	s_add_u32 s4, s18, -1
	s_addc_u32 s5, s19, -1
	s_lshr_b64 s[4:5], s[4:5], 4
	s_add_u32 s22, s4, 1
	s_addc_u32 s23, s5, 0
	v_mov_b64_e32 v[2:3], s[22:23]
	v_cmp_lt_u64_e32 vcc, s[2:3], v[2:3]
	s_cbranch_vccnz .LBB0_4
; %bb.3:
	v_cvt_f32_u32_e32 v1, s22
	s_sub_i32 s4, 0, s22
	s_mov_b32 s25, s3
	v_rcp_iflag_f32_e32 v1, v1
	s_nop 0
	v_mul_f32_e32 v1, 0x4f7ffffe, v1
	v_cvt_u32_f32_e32 v1, v1
	s_nop 0
	v_readfirstlane_b32 s5, v1
	s_mul_i32 s4, s4, s5
	s_mul_hi_u32 s4, s5, s4
	s_add_i32 s5, s5, s4
	s_mul_hi_u32 s4, s2, s5
	s_mul_i32 s12, s4, s22
	s_sub_i32 s12, s2, s12
	s_add_i32 s5, s4, 1
	s_sub_i32 s13, s12, s22
	s_cmp_ge_u32 s12, s22
	s_cselect_b32 s4, s5, s4
	s_cselect_b32 s12, s13, s12
	s_add_i32 s5, s4, 1
	s_cmp_ge_u32 s12, s22
	s_cselect_b32 s24, s5, s4
.LBB0_4:
	s_load_dwordx2 s[16:17], s[0:1], 0x0
	s_load_dwordx4 s[12:15], s[10:11], 0x0
	s_mul_i32 s4, s24, s23
	s_mul_hi_u32 s5, s24, s22
	s_add_i32 s5, s5, s4
	s_mul_i32 s4, s24, s22
	s_sub_u32 s4, s2, s4
	s_subb_u32 s5, 0, s5
	v_mov_b32_e32 v1, s4
	s_lshl_b64 s[20:21], s[4:5], 4
	v_alignbit_b32 v1, s5, v1, 28
	s_waitcnt lgkmcnt(0)
	v_mul_lo_u32 v1, s14, v1
	s_mul_hi_u32 s4, s14, s20
	v_add_u32_e32 v1, s4, v1
	s_mul_i32 s4, s15, s20
	v_add_u32_e32 v3, s4, v1
	s_mul_i32 s4, s14, s20
	v_mov_b32_e32 v2, s4
	v_cmp_lt_u64_e64 s[4:5], s[6:7], 3
	s_and_b64 vcc, exec, s[4:5]
	s_cbranch_vccnz .LBB0_13
; %bb.5:
	s_add_u32 s26, s10, 16
	s_addc_u32 s27, s11, 0
	s_add_u32 s8, s8, 16
	s_addc_u32 s9, s9, 0
	s_mov_b64 s[28:29], 2
	s_mov_b32 s30, 0
	v_mov_b64_e32 v[4:5], s[6:7]
	s_branch .LBB0_7
.LBB0_6:                                ;   in Loop: Header=BB0_7 Depth=1
	s_mul_i32 s23, s34, s23
	s_mul_hi_u32 s31, s34, s22
	s_add_i32 s23, s31, s23
	s_mul_i32 s31, s35, s22
	s_add_i32 s23, s23, s31
	s_mul_i32 s31, s4, s35
	s_mul_hi_u32 s33, s4, s34
	s_load_dwordx2 s[36:37], s[26:27], 0x0
	s_add_i32 s31, s33, s31
	s_mul_i32 s33, s5, s34
	s_add_i32 s31, s31, s33
	s_mul_i32 s33, s4, s34
	s_sub_u32 s24, s24, s33
	s_subb_u32 s25, s25, s31
	s_waitcnt lgkmcnt(0)
	s_mul_i32 s25, s36, s25
	s_mul_hi_u32 s31, s36, s24
	s_add_i32 s25, s31, s25
	s_mul_i32 s31, s37, s24
	s_add_i32 s25, s25, s31
	s_add_u32 s28, s28, 1
	s_addc_u32 s29, s29, 0
	s_add_u32 s26, s26, 8
	s_addc_u32 s27, s27, 0
	s_mul_i32 s24, s36, s24
	s_add_u32 s8, s8, 8
	v_cmp_ge_u64_e32 vcc, s[28:29], v[4:5]
	s_mul_i32 s22, s34, s22
	v_lshl_add_u64 v[2:3], s[24:25], 0, v[2:3]
	s_addc_u32 s9, s9, 0
	s_mov_b64 s[24:25], s[4:5]
	s_cbranch_vccnz .LBB0_11
.LBB0_7:                                ; =>This Inner Loop Header: Depth=1
	s_load_dwordx2 s[34:35], s[8:9], 0x0
	s_waitcnt lgkmcnt(0)
	s_or_b64 s[4:5], s[24:25], s[34:35]
	s_mov_b32 s31, s5
	s_cmp_lg_u64 s[30:31], 0
	s_cbranch_scc0 .LBB0_9
; %bb.8:                                ;   in Loop: Header=BB0_7 Depth=1
	v_cvt_f32_u32_e32 v1, s34
	v_cvt_f32_u32_e32 v6, s35
	s_sub_u32 s4, 0, s34
	s_subb_u32 s5, 0, s35
	v_fmac_f32_e32 v1, 0x4f800000, v6
	v_rcp_f32_e32 v1, v1
	s_nop 0
	v_mul_f32_e32 v1, 0x5f7ffffc, v1
	v_mul_f32_e32 v6, 0x2f800000, v1
	v_trunc_f32_e32 v6, v6
	v_fmac_f32_e32 v1, 0xcf800000, v6
	v_cvt_u32_f32_e32 v6, v6
	v_cvt_u32_f32_e32 v1, v1
	v_readfirstlane_b32 s31, v6
	v_readfirstlane_b32 s33, v1
	s_mul_i32 s36, s4, s31
	s_mul_hi_u32 s38, s4, s33
	s_mul_i32 s37, s5, s33
	s_add_i32 s36, s38, s36
	s_mul_i32 s39, s4, s33
	s_add_i32 s36, s36, s37
	s_mul_hi_u32 s37, s33, s36
	s_mul_i32 s38, s33, s36
	s_mul_hi_u32 s33, s33, s39
	s_add_u32 s33, s33, s38
	s_addc_u32 s37, 0, s37
	s_mul_hi_u32 s40, s31, s39
	s_mul_i32 s39, s31, s39
	s_add_u32 s33, s33, s39
	s_mul_hi_u32 s38, s31, s36
	s_addc_u32 s33, s37, s40
	s_addc_u32 s37, s38, 0
	s_mul_i32 s36, s31, s36
	s_add_u32 s33, s33, s36
	s_addc_u32 s36, 0, s37
	v_add_co_u32_e32 v1, vcc, s33, v1
	s_cmp_lg_u64 vcc, 0
	s_addc_u32 s31, s31, s36
	v_readfirstlane_b32 s36, v1
	s_mul_i32 s33, s4, s31
	s_mul_hi_u32 s37, s4, s36
	s_add_i32 s33, s37, s33
	s_mul_i32 s5, s5, s36
	s_add_i32 s33, s33, s5
	s_mul_i32 s4, s4, s36
	s_mul_hi_u32 s37, s31, s4
	s_mul_i32 s38, s31, s4
	s_mul_i32 s40, s36, s33
	s_mul_hi_u32 s4, s36, s4
	s_mul_hi_u32 s39, s36, s33
	s_add_u32 s4, s4, s40
	s_addc_u32 s36, 0, s39
	s_add_u32 s4, s4, s38
	s_mul_hi_u32 s5, s31, s33
	s_addc_u32 s4, s36, s37
	s_addc_u32 s5, s5, 0
	s_mul_i32 s33, s31, s33
	s_add_u32 s4, s4, s33
	s_addc_u32 s5, 0, s5
	v_add_co_u32_e32 v1, vcc, s4, v1
	s_cmp_lg_u64 vcc, 0
	s_addc_u32 s4, s31, s5
	v_readfirstlane_b32 s33, v1
	s_mul_i32 s31, s24, s4
	s_mul_hi_u32 s36, s24, s33
	s_mul_hi_u32 s5, s24, s4
	s_add_u32 s31, s36, s31
	s_addc_u32 s5, 0, s5
	s_mul_hi_u32 s37, s25, s33
	s_mul_i32 s33, s25, s33
	s_add_u32 s31, s31, s33
	s_mul_hi_u32 s36, s25, s4
	s_addc_u32 s5, s5, s37
	s_addc_u32 s31, s36, 0
	s_mul_i32 s4, s25, s4
	s_add_u32 s33, s5, s4
	s_addc_u32 s31, 0, s31
	s_mul_i32 s4, s34, s31
	s_mul_hi_u32 s5, s34, s33
	s_add_i32 s4, s5, s4
	s_mul_i32 s5, s35, s33
	s_add_i32 s36, s4, s5
	s_mul_i32 s5, s34, s33
	v_mov_b32_e32 v1, s5
	s_sub_i32 s4, s25, s36
	v_sub_co_u32_e32 v1, vcc, s24, v1
	s_cmp_lg_u64 vcc, 0
	s_subb_u32 s37, s4, s35
	v_subrev_co_u32_e64 v6, s[4:5], s34, v1
	s_cmp_lg_u64 s[4:5], 0
	s_subb_u32 s4, s37, 0
	s_cmp_ge_u32 s4, s35
	v_readfirstlane_b32 s37, v6
	s_cselect_b32 s5, -1, 0
	s_cmp_ge_u32 s37, s34
	s_cselect_b32 s37, -1, 0
	s_cmp_eq_u32 s4, s35
	s_cselect_b32 s4, s37, s5
	s_add_u32 s5, s33, 1
	s_addc_u32 s37, s31, 0
	s_add_u32 s38, s33, 2
	s_addc_u32 s39, s31, 0
	s_cmp_lg_u32 s4, 0
	s_cselect_b32 s4, s38, s5
	s_cselect_b32 s5, s39, s37
	s_cmp_lg_u64 vcc, 0
	s_subb_u32 s36, s25, s36
	s_cmp_ge_u32 s36, s35
	v_readfirstlane_b32 s38, v1
	s_cselect_b32 s37, -1, 0
	s_cmp_ge_u32 s38, s34
	s_cselect_b32 s38, -1, 0
	s_cmp_eq_u32 s36, s35
	s_cselect_b32 s36, s38, s37
	s_cmp_lg_u32 s36, 0
	s_cselect_b32 s5, s5, s31
	s_cselect_b32 s4, s4, s33
	s_cbranch_execnz .LBB0_6
	s_branch .LBB0_10
.LBB0_9:                                ;   in Loop: Header=BB0_7 Depth=1
                                        ; implicit-def: $sgpr4_sgpr5
.LBB0_10:                               ;   in Loop: Header=BB0_7 Depth=1
	v_cvt_f32_u32_e32 v1, s34
	s_sub_i32 s4, 0, s34
	v_rcp_iflag_f32_e32 v1, v1
	s_nop 0
	v_mul_f32_e32 v1, 0x4f7ffffe, v1
	v_cvt_u32_f32_e32 v1, v1
	s_nop 0
	v_readfirstlane_b32 s5, v1
	s_mul_i32 s4, s4, s5
	s_mul_hi_u32 s4, s5, s4
	s_add_i32 s5, s5, s4
	s_mul_hi_u32 s4, s24, s5
	s_mul_i32 s31, s4, s34
	s_sub_i32 s31, s24, s31
	s_add_i32 s5, s4, 1
	s_sub_i32 s33, s31, s34
	s_cmp_ge_u32 s31, s34
	s_cselect_b32 s4, s5, s4
	s_cselect_b32 s31, s33, s31
	s_add_i32 s5, s4, 1
	s_cmp_ge_u32 s31, s34
	s_cselect_b32 s4, s5, s4
	s_mov_b32 s5, s30
	s_branch .LBB0_6
.LBB0_11:
	v_mov_b64_e32 v[4:5], s[22:23]
	v_cmp_lt_u64_e32 vcc, s[2:3], v[4:5]
	s_mov_b64 s[24:25], 0
	s_cbranch_vccnz .LBB0_13
; %bb.12:
	v_cvt_f32_u32_e32 v1, s22
	s_sub_i32 s3, 0, s22
	v_rcp_iflag_f32_e32 v1, v1
	s_nop 0
	v_mul_f32_e32 v1, 0x4f7ffffe, v1
	v_cvt_u32_f32_e32 v1, v1
	s_nop 0
	v_readfirstlane_b32 s4, v1
	s_mul_i32 s3, s3, s4
	s_mul_hi_u32 s3, s4, s3
	s_add_i32 s4, s4, s3
	s_mul_hi_u32 s3, s2, s4
	s_mul_i32 s5, s3, s22
	s_sub_i32 s2, s2, s5
	s_add_i32 s4, s3, 1
	s_sub_i32 s5, s2, s22
	s_cmp_ge_u32 s2, s22
	s_cselect_b32 s3, s4, s3
	s_cselect_b32 s2, s5, s2
	s_add_i32 s4, s3, 1
	s_cmp_ge_u32 s2, s22
	s_cselect_b32 s24, s4, s3
.LBB0_13:
	s_load_dwordx2 s[4:5], s[0:1], 0x58
	s_lshl_b64 s[0:1], s[6:7], 3
	s_add_u32 s0, s10, s0
	s_addc_u32 s1, s11, s1
	s_load_dwordx2 s[0:1], s[0:1], 0x0
	v_mov_b64_e32 v[4:5], s[18:19]
	v_and_b32_e32 v8, 15, v0
                                        ; implicit-def: $vgpr10
                                        ; implicit-def: $vgpr24
                                        ; implicit-def: $vgpr12
                                        ; implicit-def: $vgpr25
                                        ; implicit-def: $vgpr11
                                        ; implicit-def: $vgpr26
                                        ; implicit-def: $vgpr13
                                        ; implicit-def: $vgpr27
                                        ; implicit-def: $vgpr16
                                        ; implicit-def: $vgpr22
                                        ; implicit-def: $vgpr17
                                        ; implicit-def: $vgpr23
                                        ; implicit-def: $vgpr20
                                        ; implicit-def: $vgpr28
                                        ; implicit-def: $vgpr21
                                        ; implicit-def: $vgpr29
	s_waitcnt lgkmcnt(0)
	s_mul_i32 s1, s1, s24
	s_mul_hi_u32 s2, s0, s24
	s_mul_i32 s0, s0, s24
	s_add_i32 s1, s2, s1
	v_lshl_add_u64 v[2:3], s[0:1], 0, v[2:3]
	s_add_u32 s0, s20, 16
	s_addc_u32 s1, s21, 0
	v_cmp_le_u64_e32 vcc, s[0:1], v[4:5]
	s_movk_i32 s0, 0x80
	v_lshrrev_b32_e32 v4, 4, v0
	v_cmp_gt_u32_e64 s[0:1], s0, v0
	s_and_b64 s[6:7], s[0:1], vcc
	v_lshlrev_b64 v[0:1], 2, v[2:3]
	v_or_b32_e32 v19, 8, v4
	v_or_b32_e32 v9, 16, v4
	;; [unrolled: 1-line block ×8, first 2 shown]
	s_and_saveexec_b64 s[2:3], s[6:7]
	s_cbranch_execz .LBB0_15
; %bb.14:
	v_mad_u64_u32 v[2:3], s[6:7], s14, v8, 0
	v_mov_b32_e32 v10, v3
	v_mad_u64_u32 v[10:11], s[6:7], s15, v8, v[10:11]
	v_mov_b32_e32 v3, v10
	;; [unrolled: 2-line block ×4, first 2 shown]
	v_lshl_add_u64 v[12:13], s[4:5], 0, v[0:1]
	v_lshl_add_u64 v[2:3], v[2:3], 2, v[12:13]
	;; [unrolled: 1-line block ×3, first 2 shown]
	v_mad_u64_u32 v[10:11], s[6:7], s12, v19, 0
	v_mov_b32_e32 v12, v11
	v_mad_u64_u32 v[12:13], s[6:7], s13, v19, v[12:13]
	v_mov_b32_e32 v11, v12
	v_lshl_add_u64 v[22:23], v[10:11], 2, v[2:3]
	v_mad_u64_u32 v[10:11], s[6:7], s12, v9, 0
	v_mov_b32_e32 v12, v11
	v_mad_u64_u32 v[12:13], s[6:7], s13, v9, v[12:13]
	v_mov_b32_e32 v11, v12
	v_lshl_add_u64 v[24:25], v[10:11], 2, v[2:3]
	;; [unrolled: 5-line block ×7, first 2 shown]
	v_mad_u64_u32 v[10:11], s[6:7], s12, v5, 0
	v_mov_b32_e32 v12, v11
	v_mad_u64_u32 v[12:13], s[6:7], s13, v5, v[12:13]
	v_mov_b32_e32 v11, v12
	v_or_b32_e32 v13, 0x48, v4
	v_lshl_add_u64 v[36:37], v[10:11], 2, v[2:3]
	v_mad_u64_u32 v[10:11], s[6:7], s12, v13, 0
	v_mov_b32_e32 v12, v11
	v_mad_u64_u32 v[12:13], s[6:7], s13, v13, v[12:13]
	v_mov_b32_e32 v11, v12
	v_or_b32_e32 v13, 0x50, v4
	v_lshl_add_u64 v[38:39], v[10:11], 2, v[2:3]
	;; [unrolled: 6-line block ×6, first 2 shown]
	v_mad_u64_u32 v[10:11], s[6:7], s12, v13, 0
	v_mov_b32_e32 v12, v11
	v_mad_u64_u32 v[12:13], s[6:7], s13, v13, v[12:13]
	v_mov_b32_e32 v11, v12
	v_lshl_add_u64 v[48:49], v[10:11], 2, v[2:3]
	global_load_dword v50, v[34:35], off
	global_load_dword v13, v[32:33], off
	;; [unrolled: 1-line block ×8, first 2 shown]
	v_or_b32_e32 v23, 0x78, v4
	v_mad_u64_u32 v[20:21], s[6:7], s12, v23, 0
	v_mov_b32_e32 v22, v21
	v_mad_u64_u32 v[22:23], s[6:7], s13, v23, v[22:23]
	v_mov_b32_e32 v21, v22
	v_lshl_add_u64 v[2:3], v[20:21], 2, v[2:3]
	global_load_dword v27, v[48:49], off
	global_load_dword v29, v[2:3], off
	;; [unrolled: 1-line block ×8, first 2 shown]
	s_waitcnt vmcnt(11)
	v_alignbit_b32 v20, v51, v51, 16
	s_waitcnt vmcnt(6)
	v_alignbit_b32 v29, v29, v29, 16
	;; [unrolled: 2-line block ×3, first 2 shown]
	v_alignbit_b32 v21, v50, v50, 16
.LBB0_15:
	s_or_b64 exec, exec, s[2:3]
	v_mov_b32_e32 v3, s21
	v_or_b32_e32 v2, s20, v8
	v_cmp_gt_u64_e64 s[2:3], s[18:19], v[2:3]
	s_xor_b64 s[6:7], vcc, -1
	s_and_b64 s[8:9], s[0:1], s[2:3]
	s_and_b64 s[8:9], s[6:7], s[8:9]
	s_and_saveexec_b64 s[6:7], s[8:9]
	s_cbranch_execz .LBB0_17
; %bb.16:
	v_mad_u64_u32 v[10:11], s[8:9], s14, v8, 0
	v_mov_b32_e32 v12, v11
	v_mad_u64_u32 v[12:13], s[8:9], s15, v8, v[12:13]
	v_mov_b32_e32 v11, v12
	;; [unrolled: 2-line block ×4, first 2 shown]
	v_lshl_add_u64 v[16:17], s[4:5], 0, v[0:1]
	v_lshl_add_u64 v[10:11], v[10:11], 2, v[16:17]
	v_lshl_add_u64 v[20:21], v[12:13], 2, v[10:11]
	v_mad_u64_u32 v[12:13], s[8:9], s12, v19, 0
	v_mov_b32_e32 v16, v13
	v_mad_u64_u32 v[16:17], s[8:9], s13, v19, v[16:17]
	v_mov_b32_e32 v13, v16
	v_lshl_add_u64 v[28:29], v[12:13], 2, v[10:11]
	v_mad_u64_u32 v[12:13], s[8:9], s12, v9, 0
	v_mov_b32_e32 v16, v13
	v_mad_u64_u32 v[16:17], s[8:9], s13, v9, v[16:17]
	v_mov_b32_e32 v13, v16
	v_lshl_add_u64 v[30:31], v[12:13], 2, v[10:11]
	;; [unrolled: 5-line block ×7, first 2 shown]
	v_mad_u64_u32 v[12:13], s[8:9], s12, v5, 0
	v_mov_b32_e32 v16, v13
	v_mad_u64_u32 v[16:17], s[8:9], s13, v5, v[16:17]
	v_mov_b32_e32 v13, v16
	v_or_b32_e32 v3, 0x48, v4
	v_lshl_add_u64 v[38:39], v[12:13], 2, v[10:11]
	v_mad_u64_u32 v[12:13], s[8:9], s12, v3, 0
	v_mov_b32_e32 v16, v13
	v_mad_u64_u32 v[16:17], s[8:9], s13, v3, v[16:17]
	v_mov_b32_e32 v13, v16
	v_or_b32_e32 v3, 0x50, v4
	v_lshl_add_u64 v[40:41], v[12:13], 2, v[10:11]
	;; [unrolled: 6-line block ×7, first 2 shown]
	v_mad_u64_u32 v[12:13], s[8:9], s12, v3, 0
	v_mov_b32_e32 v16, v13
	v_mad_u64_u32 v[16:17], s[8:9], s13, v3, v[16:17]
	v_mov_b32_e32 v13, v16
	v_lshl_add_u64 v[52:53], v[12:13], 2, v[10:11]
	global_load_dword v10, v[20:21], off
	global_load_dword v16, v[28:29], off
	;; [unrolled: 1-line block ×15, first 2 shown]
                                        ; kill: killed $vgpr44_vgpr45
                                        ; kill: killed $vgpr52_vgpr53
                                        ; kill: killed $vgpr14_vgpr15
                                        ; kill: killed $vgpr18_vgpr19
                                        ; kill: killed $vgpr42_vgpr43
                                        ; kill: killed $vgpr36_vgpr37
                                        ; kill: killed $vgpr30_vgpr31
                                        ; kill: killed $vgpr48_vgpr49
                                        ; kill: killed $vgpr40_vgpr41
                                        ; kill: killed $vgpr34_vgpr35
                                        ; kill: killed $vgpr28_vgpr29
                                        ; kill: killed $vgpr46_vgpr47
                                        ; kill: killed $vgpr38_vgpr39
                                        ; kill: killed $vgpr32_vgpr33
                                        ; kill: killed $vgpr20_vgpr21
	global_load_dword v27, v[50:51], off
	s_waitcnt vmcnt(12)
	v_alignbit_b32 v20, v3, v3, 16
	s_waitcnt vmcnt(8)
	v_alignbit_b32 v21, v54, v54, 16
	;; [unrolled: 2-line block ×4, first 2 shown]
.LBB0_17:
	s_or_b64 exec, exec, s[6:7]
	v_lshlrev_b32_e32 v14, 2, v8
	s_and_saveexec_b64 s[6:7], s[0:1]
	s_cbranch_execz .LBB0_19
; %bb.18:
	v_pk_add_f16 v28, v20, v28 neg_lo:[0,1] neg_hi:[0,1]
	s_waitcnt vmcnt(0)
	v_pk_add_f16 v3, v10, v24 neg_lo:[0,1] neg_hi:[0,1]
	v_pk_add_f16 v15, v12, v25 neg_lo:[0,1] neg_hi:[0,1]
	;; [unrolled: 1-line block ×7, first 2 shown]
	v_lshrrev_b32_e32 v33, 16, v28
	v_sub_f16_sdwa v18, v3, v15 dst_sel:DWORD dst_unused:UNUSED_PAD src0_sel:DWORD src1_sel:WORD_1
	v_sub_f16_sdwa v25, v19, v24 dst_sel:DWORD dst_unused:UNUSED_PAD src0_sel:DWORD src1_sel:WORD_1
	s_movk_i32 s0, 0x39a8
	v_lshrrev_b32_e32 v27, 16, v19
	v_sub_f16_sdwa v32, v22, v23 dst_sel:DWORD dst_unused:UNUSED_PAD src0_sel:DWORD src1_sel:WORD_1
	v_sub_f16_e32 v34, v33, v29
	v_lshrrev_b32_e32 v39, 16, v22
	v_lshrrev_b32_e32 v43, 16, v3
	v_fma_f16 v26, v25, s0, v18
	v_add_f16_e32 v30, v27, v24
	s_mov_b32 s1, 0xb9a8
	v_fma_f16 v35, v34, s0, v32
	v_add_f16_sdwa v36, v28, v29 dst_sel:DWORD dst_unused:UNUSED_PAD src0_sel:DWORD src1_sel:WORD_1
	v_add_f16_e32 v40, v39, v23
	v_add_f16_e32 v44, v43, v15
	v_fma_f16 v26, v30, s1, v26
	v_fma_f16 v35, v36, s1, v35
	;; [unrolled: 1-line block ×4, first 2 shown]
	v_fma_f16 v31, v18, 2.0, -v26
	v_fma_f16 v37, v32, 2.0, -v35
	s_mov_b32 s8, 0xb61f
	v_fma_f16 v41, v34, s0, v41
	v_fma_f16 v45, v25, s0, v45
	;; [unrolled: 1-line block ×3, first 2 shown]
	v_fma_f16 v42, v40, 2.0, -v41
	s_mov_b32 s9, 0xbb64
	v_fma_f16 v46, v44, 2.0, -v45
	v_fma_f16 v38, v42, s9, v38
	v_fma_f16 v42, v42, s8, v46
	s_movk_i32 s10, 0x3b64
	v_fma_f16 v18, v3, 2.0, -v18
	v_fma_f16 v25, v19, 2.0, -v25
	;; [unrolled: 1-line block ×4, first 2 shown]
	v_pk_fma_f16 v3, v10, 2.0, v3 op_sel_hi:[1,0,1] neg_lo:[0,0,1] neg_hi:[0,0,1]
	v_pk_fma_f16 v10, v12, 2.0, v15 op_sel_hi:[1,0,1] neg_lo:[0,0,1] neg_hi:[0,0,1]
	;; [unrolled: 1-line block ×4, first 2 shown]
	v_fma_f16 v37, v37, s10, v42
	v_fma_f16 v42, v25, s1, v18
	v_fma_f16 v27, v27, 2.0, -v30
	v_fma_f16 v34, v33, s1, v32
	v_fma_f16 v36, v28, 2.0, -v36
	v_fma_f16 v39, v39, 2.0, -v40
	;; [unrolled: 1-line block ×3, first 2 shown]
	v_pk_fma_f16 v16, v16, 2.0, v22 op_sel_hi:[1,0,1] neg_lo:[0,0,1] neg_hi:[0,0,1]
	v_pk_fma_f16 v17, v17, 2.0, v23 op_sel_hi:[1,0,1] neg_lo:[0,0,1] neg_hi:[0,0,1]
	v_pk_fma_f16 v20, v20, 2.0, v28 op_sel_hi:[1,0,1] neg_lo:[0,0,1] neg_hi:[0,0,1]
	v_pk_fma_f16 v21, v21, 2.0, v29 op_sel_hi:[1,0,1] neg_lo:[0,0,1] neg_hi:[0,0,1]
	v_pk_add_f16 v10, v3, v10 neg_lo:[0,1] neg_hi:[0,1]
	v_pk_add_f16 v12, v11, v12 neg_lo:[0,1] neg_hi:[0,1]
	v_fma_f16 v30, v27, s1, v42
	v_fma_f16 v34, v36, s1, v34
	;; [unrolled: 1-line block ×4, first 2 shown]
	v_pk_add_f16 v17, v16, v17 neg_lo:[0,1] neg_hi:[0,1]
	v_pk_add_f16 v21, v20, v21 neg_lo:[0,1] neg_hi:[0,1]
	s_mov_b32 s1, 0xffff
	v_pk_add_f16 v13, v10, v12 op_sel:[0,1] op_sel_hi:[1,0] neg_lo:[0,1] neg_hi:[0,1]
	v_pk_add_f16 v15, v10, v12 op_sel:[0,1] op_sel_hi:[1,0]
	v_pk_add_f16 v22, v17, v21 neg_lo:[0,1] neg_hi:[0,1]
	v_pk_add_f16 v23, v17, v21
	v_bfi_b32 v13, s1, v13, v15
	v_bfi_b32 v22, s1, v22, v23
	v_pk_fma_f16 v23, v10, 2.0, v13 op_sel_hi:[1,0,1] neg_lo:[0,0,1] neg_hi:[0,0,1]
	v_pk_fma_f16 v3, v3, 2.0, v10 op_sel_hi:[1,0,1] neg_lo:[0,0,1] neg_hi:[0,0,1]
	;; [unrolled: 1-line block ×5, first 2 shown]
	s_movk_i32 s11, 0x361f
	v_pk_add_f16 v10, v3, v10 neg_lo:[0,1] neg_hi:[0,1]
	v_pk_add_f16 v12, v11, v12 op_sel:[1,0] op_sel_hi:[0,1] neg_lo:[0,1] neg_hi:[0,1]
	v_fma_f16 v42, v34, s11, v30
	v_fma_f16 v33, v33, s0, v36
	;; [unrolled: 1-line block ×3, first 2 shown]
	v_pk_fma_f16 v15, v17, 2.0, v22 op_sel_hi:[1,0,1] neg_lo:[0,0,1] neg_hi:[0,0,1]
	v_pk_add_f16 v16, v10, v12 neg_lo:[0,1] neg_hi:[0,1]
	v_pk_add_f16 v17, v10, v12
	v_fma_f16 v36, v33, s9, v42
	v_fma_f16 v27, v33, s11, v25
	v_bfi_b32 v16, s1, v16, v17
	v_fma_f16 v27, v34, s10, v27
	v_fma_f16 v42, v35, s10, v26
	v_fma_f16 v43, v30, 2.0, -v36
	v_fma_f16 v18, v18, 2.0, -v30
	;; [unrolled: 1-line block ×3, first 2 shown]
	v_pk_fma_f16 v17, v10, 2.0, v16 op_sel_hi:[1,0,1] neg_lo:[0,0,1] neg_hi:[0,0,1]
	v_pk_fma_f16 v3, v3, 2.0, v10 op_sel_hi:[1,0,1] neg_lo:[0,0,1] neg_hi:[0,0,1]
	v_pk_fma_f16 v10, v11, 2.0, v12 op_sel:[1,0,0] op_sel_hi:[0,0,1] neg_lo:[0,0,1] neg_hi:[0,0,1]
	v_fma_f16 v42, v41, s8, v42
	v_fma_f16 v41, v41, s10, v45
	v_fma_f16 v44, v25, 2.0, -v27
	v_fma_f16 v32, v30, s9, v18
	v_fma_f16 v33, v39, 2.0, -v33
	v_fma_f16 v25, v40, 2.0, -v25
	v_pk_mul_f16 v19, v15, s0 op_sel_hi:[1,0]
	v_pk_fma_f16 v15, v15, s0, v23 op_sel_hi:[1,0,1] neg_lo:[1,0,0] neg_hi:[1,0,0]
	v_pk_add_f16 v10, v3, v10 op_sel:[0,1] op_sel_hi:[1,0] neg_lo:[0,1] neg_hi:[0,1]
	v_fma_f16 v35, v35, s11, v41
	v_fma_f16 v32, v33, s8, v32
	v_fma_f16 v33, v33, s9, v25
	v_pk_add_f16 v24, v15, v19 op_sel:[0,1] op_sel_hi:[1,0] neg_lo:[0,1] neg_hi:[0,1]
	v_pk_add_f16 v15, v15, v19 op_sel:[0,1] op_sel_hi:[1,0]
	v_lshrrev_b32_e32 v11, 16, v3
	v_lshrrev_b32_e32 v12, 16, v10
	v_fma_f16 v41, v45, 2.0, -v35
	v_fma_f16 v31, v31, 2.0, -v38
	;; [unrolled: 1-line block ×3, first 2 shown]
	v_fma_f16 v30, v30, s11, v33
	v_lshlrev_b32_e32 v33, 10, v4
	v_bfi_b32 v15, s1, v24, v15
	v_fma_f16 v11, v11, 2.0, -v12
	v_fma_f16 v18, v18, 2.0, -v32
	;; [unrolled: 1-line block ×3, first 2 shown]
	v_add3_u32 v33, 0, v33, v14
	v_pk_fma_f16 v19, v23, 2.0, v15 op_sel_hi:[1,0,1] neg_lo:[0,0,1] neg_hi:[0,0,1]
	v_pack_b32_f16 v23, v31, v45
	v_lshlrev_b32_e32 v11, 16, v11
	v_fma_f16 v3, v3, 2.0, -v10
	v_pack_b32_f16 v18, v18, v25
	ds_write2_b32 v33, v19, v23 offset0:32 offset1:48
	v_pack_b32_f16 v19, v43, v44
	v_or_b32_sdwa v3, v11, v3 dst_sel:DWORD dst_unused:UNUSED_PAD src0_sel:DWORD src1_sel:WORD_0
	ds_write2_b32 v33, v17, v19 offset0:64 offset1:80
	v_pk_mul_f16 v17, v22, s0 op_sel_hi:[1,0]
	v_pk_fma_f16 v19, v22, s0, v13 op_sel_hi:[1,0,1]
	ds_write2_b32 v33, v3, v18 offset1:16
	v_pack_b32_f16 v3, v32, v30
	v_pk_add_f16 v20, v19, v17 op_sel:[0,1] op_sel_hi:[1,0] neg_lo:[0,1] neg_hi:[0,1]
	v_pk_add_f16 v17, v19, v17 op_sel:[0,1] op_sel_hi:[1,0]
	ds_write2_b32 v33, v10, v3 offset0:128 offset1:144
	v_pack_b32_f16 v3, v38, v37
	v_fma_f16 v26, v26, 2.0, -v42
	v_bfi_b32 v17, s1, v20, v17
	ds_write2_b32 v33, v15, v3 offset0:160 offset1:176
	v_pack_b32_f16 v3, v36, v27
	v_pk_fma_f16 v13, v13, 2.0, v17 op_sel_hi:[1,0,1] neg_lo:[0,0,1] neg_hi:[0,0,1]
	v_pack_b32_f16 v19, v26, v41
	ds_write2_b32 v33, v16, v3 offset0:192 offset1:208
	v_pack_b32_f16 v3, v42, v35
	ds_write2_b32 v33, v13, v19 offset0:96 offset1:112
	ds_write2_b32 v33, v17, v3 offset0:224 offset1:240
.LBB0_19:
	s_or_b64 exec, exec, s[6:7]
	s_or_b64 s[0:1], vcc, s[2:3]
	s_waitcnt lgkmcnt(0)
	s_barrier
	s_and_saveexec_b64 s[2:3], s[0:1]
	s_cbranch_execz .LBB0_21
; %bb.20:
	v_mul_u32_u24_e32 v3, 7, v4
	v_lshlrev_b32_e32 v3, 2, v3
	global_load_dwordx4 v[10:13], v3, s[16:17]
	global_load_dwordx3 v[16:18], v3, s[16:17] offset:16
	v_lshlrev_b32_e32 v15, 6, v4
	s_waitcnt vmcnt(2)
	v_add3_u32 v24, 0, v15, v14
	v_or_b32_e32 v19, 0x60, v4
	ds_read2st64_b32 v[14:15], v24 offset1:4
	ds_read2st64_b32 v[20:21], v24 offset0:16 offset1:20
	ds_read2st64_b32 v[22:23], v24 offset0:8 offset1:12
	;; [unrolled: 1-line block ×3, first 2 shown]
	v_lshlrev_b32_e32 v26, 4, v2
	v_mul_lo_u32 v29, v19, v2
	v_or_b32_e32 v3, 0x70, v4
	v_lshrrev_b32_e32 v32, 10, v29
	v_and_b32_e32 v33, 63, v29
	v_lshrrev_b32_e32 v34, 4, v29
	v_sub_u32_e32 v29, v29, v26
	s_waitcnt lgkmcnt(3)
	v_lshrrev_b32_e32 v37, 16, v15
	v_lshlrev_b32_e32 v27, 5, v2
	v_mul_lo_u32 v28, v3, v2
	v_sub_u32_e32 v35, v29, v26
	s_waitcnt lgkmcnt(2)
	v_lshrrev_b32_e32 v42, 16, v20
	v_lshrrev_b32_e32 v30, 10, v28
	v_and_b32_e32 v31, 63, v28
	v_lshrrev_b32_e32 v28, 4, v28
	v_sub_u32_e32 v27, v35, v27
	v_lshrrev_b32_e32 v38, 16, v21
	s_waitcnt lgkmcnt(1)
	v_lshrrev_b32_e32 v43, 16, v22
	s_add_i32 s0, 0, 0x2000
	v_and_b32_e32 v30, 0xfc, v30
	v_and_b32_e32 v28, 0xfc, v28
	;; [unrolled: 1-line block ×5, first 2 shown]
	v_lshrrev_b32_e32 v39, 16, v23
	s_waitcnt lgkmcnt(0)
	v_lshrrev_b32_e32 v40, 16, v25
	v_lshrrev_b32_e32 v44, 16, v24
	v_lshl_add_u32 v31, v31, 2, 0
	v_lshl_add_u32 v33, v33, 2, 0
	v_add_u32_e32 v30, s0, v30
	v_add_u32_e32 v28, s0, v28
	;; [unrolled: 1-line block ×4, first 2 shown]
	v_lshl_add_u32 v36, v36, 2, 0
	v_lshrrev_b32_e32 v41, 16, v14
	ds_read_b32 v30, v30 offset:512
	ds_read_b32 v31, v31 offset:8192
	;; [unrolled: 1-line block ×4, first 2 shown]
	ds_read_u16 v33, v33 offset:8192
	ds_read_b32 v34, v34 offset:256
	ds_read_b32 v45, v36 offset:8192
	ds_read_u16 v36, v36 offset:8194
	s_movk_i32 s1, 0x39a8
	s_mov_b32 s2, 0xb9a8
	v_sub_u32_e32 v26, v27, v26
	v_lshl_add_u64 v[0:1], s[4:5], 0, v[0:1]
	s_waitcnt vmcnt(1)
	v_mul_f16_sdwa v46, v10, v37 dst_sel:DWORD dst_unused:UNUSED_PAD src0_sel:WORD_1 src1_sel:DWORD
	v_mul_f16_sdwa v50, v13, v20 dst_sel:DWORD dst_unused:UNUSED_PAD src0_sel:WORD_1 src1_sel:DWORD
	v_mul_f16_sdwa v53, v10, v15 dst_sel:DWORD dst_unused:UNUSED_PAD src0_sel:WORD_1 src1_sel:DWORD
	v_fma_f16 v15, v10, v15, -v46
	v_fma_f16 v46, v13, v42, v50
	v_mul_f16_sdwa v42, v13, v42 dst_sel:DWORD dst_unused:UNUSED_PAD src0_sel:WORD_1 src1_sel:DWORD
	s_waitcnt vmcnt(0)
	v_mul_f16_sdwa v47, v16, v38 dst_sel:DWORD dst_unused:UNUSED_PAD src0_sel:WORD_1 src1_sel:DWORD
	v_mul_f16_sdwa v51, v11, v43 dst_sel:DWORD dst_unused:UNUSED_PAD src0_sel:WORD_1 src1_sel:DWORD
	v_fma_f16 v13, v13, v20, -v42
	v_mul_f16_sdwa v20, v11, v22 dst_sel:DWORD dst_unused:UNUSED_PAD src0_sel:WORD_1 src1_sel:DWORD
	v_mul_f16_sdwa v48, v12, v23 dst_sel:DWORD dst_unused:UNUSED_PAD src0_sel:WORD_1 src1_sel:DWORD
	v_mul_f16_sdwa v49, v25, v18 dst_sel:DWORD dst_unused:UNUSED_PAD src0_sel:DWORD src1_sel:WORD_1
	v_mul_f16_sdwa v52, v44, v17 dst_sel:DWORD dst_unused:UNUSED_PAD src0_sel:DWORD src1_sel:WORD_1
	v_mul_f16_sdwa v54, v16, v21 dst_sel:DWORD dst_unused:UNUSED_PAD src0_sel:WORD_1 src1_sel:DWORD
	v_mul_f16_sdwa v55, v12, v39 dst_sel:DWORD dst_unused:UNUSED_PAD src0_sel:WORD_1 src1_sel:DWORD
	v_mul_f16_sdwa v56, v40, v18 dst_sel:DWORD dst_unused:UNUSED_PAD src0_sel:DWORD src1_sel:WORD_1
	v_fma_f16 v21, v16, v21, -v47
	v_fma_f16 v47, v11, v22, -v51
	v_fma_f16 v11, v11, v43, v20
	v_mul_f16_sdwa v20, v17, v24 dst_sel:DWORD dst_unused:UNUSED_PAD src0_sel:WORD_1 src1_sel:DWORD
	v_fma_f16 v39, v12, v39, v48
	v_fma_f16 v40, v40, v18, v49
	v_fma_f16 v48, v17, v24, -v52
	v_fma_f16 v10, v10, v37, v53
	v_fma_f16 v16, v16, v38, v54
	v_fma_f16 v12, v12, v23, -v55
	v_fma_f16 v18, v25, v18, -v56
	s_waitcnt lgkmcnt(6)
	v_lshrrev_b32_e32 v49, 16, v31
	v_fma_f16 v17, v44, v17, v20
	v_sub_f16_e32 v21, v15, v21
	v_sub_f16_e32 v23, v39, v40
	;; [unrolled: 1-line block ×6, first 2 shown]
	s_waitcnt lgkmcnt(5)
	v_mul_f16_sdwa v50, v49, v28 dst_sel:DWORD dst_unused:UNUSED_PAD src0_sel:DWORD src1_sel:WORD_1
	v_sub_f16_e32 v13, v14, v13
	v_sub_f16_e32 v17, v11, v17
	;; [unrolled: 1-line block ×3, first 2 shown]
	v_add_f16_e32 v40, v25, v37
	v_add_f16_e32 v46, v16, v18
	v_fma_f16 v50, v31, v28, -v50
	v_mul_f16_sdwa v31, v31, v28 dst_sel:DWORD dst_unused:UNUSED_PAD src0_sel:DWORD src1_sel:WORD_1
	v_sub_f16_e32 v20, v13, v17
	v_fma_f16 v48, v46, s1, v40
	v_fma_f16 v28, v49, v28, v31
	;; [unrolled: 1-line block ×3, first 2 shown]
	v_mul_f16_sdwa v24, v50, v30 dst_sel:DWORD dst_unused:UNUSED_PAD src0_sel:DWORD src1_sel:WORD_1
	v_fma_f16 v48, v38, s1, v48
	v_mul_f16_sdwa v31, v28, v30 dst_sel:DWORD dst_unused:UNUSED_PAD src0_sel:DWORD src1_sel:WORD_1
	v_fma_f16 v22, v46, s2, v22
	v_fma_f16 v24, v30, v28, v24
	v_fma_f16 v31, v30, v50, -v31
	v_mul_f16_e32 v28, v22, v24
	v_mul_f16_e32 v24, v48, v24
	v_fma_f16 v12, v12, 2.0, -v18
	s_waitcnt lgkmcnt(1)
	v_lshrrev_b32_e32 v18, 16, v45
	v_fma_f16 v28, v48, v31, v28
	v_fma_f16 v24, v22, v31, -v24
	v_mul_f16_sdwa v31, v18, v34 dst_sel:DWORD dst_unused:UNUSED_PAD src0_sel:DWORD src1_sel:WORD_1
	v_fma_f16 v31, v33, v34, -v31
	v_mul_f16_sdwa v33, v33, v34 dst_sel:DWORD dst_unused:UNUSED_PAD src0_sel:DWORD src1_sel:WORD_1
	v_fma_f16 v18, v18, v34, v33
	v_fma_f16 v30, v41, 2.0, -v25
	v_fma_f16 v11, v11, 2.0, -v17
	;; [unrolled: 1-line block ×3, first 2 shown]
	v_mul_f16_sdwa v33, v18, v32 dst_sel:DWORD dst_unused:UNUSED_PAD src0_sel:DWORD src1_sel:WORD_1
	v_fma_f16 v14, v14, 2.0, -v13
	v_fma_f16 v34, v47, 2.0, -v37
	;; [unrolled: 1-line block ×4, first 2 shown]
	v_sub_f16_e32 v11, v30, v11
	v_sub_f16_e32 v12, v15, v12
	v_fma_f16 v33, v32, v31, -v33
	v_sub_f16_e32 v34, v14, v34
	v_sub_f16_e32 v23, v10, v23
	v_mul_f16_sdwa v31, v31, v32 dst_sel:DWORD dst_unused:UNUSED_PAD src0_sel:DWORD src1_sel:WORD_1
	v_add_f16_e32 v17, v11, v12
	v_sub_f16_e32 v37, v34, v23
	v_fma_f16 v18, v32, v18, v31
	v_mul_f16_e32 v31, v37, v18
	v_mul_f16_e32 v18, v17, v18
	v_fma_f16 v31, v17, v33, v31
	v_fma_f16 v18, v37, v33, -v18
	v_fma_f16 v21, v21, 2.0, -v38
	v_lshrrev_b32_e32 v33, 10, v29
	v_and_b32_e32 v38, 63, v29
	v_lshrrev_b32_e32 v29, 4, v29
	v_lshrrev_b32_e32 v41, 10, v35
	v_and_b32_e32 v42, 63, v35
	v_lshrrev_b32_e32 v35, 4, v35
	v_and_b32_e32 v33, 0xfc, v33
	v_and_b32_e32 v29, 0xfc, v29
	;; [unrolled: 1-line block ×5, first 2 shown]
	v_add_u32_e32 v33, s0, v33
	v_lshl_add_u32 v38, v38, 2, 0
	v_add_u32_e32 v29, s0, v29
	v_lshl_add_u32 v39, v39, 2, 0
	;; [unrolled: 2-line block ×3, first 2 shown]
	v_add_u32_e32 v35, s0, v35
	ds_read_b32 v33, v33 offset:512
	ds_read_u16 v38, v38 offset:8192
	ds_read_b32 v29, v29 offset:256
	ds_read_b32 v43, v39 offset:8192
	ds_read_u16 v39, v39 offset:8194
	ds_read_b32 v41, v41 offset:512
	ds_read_u16 v42, v42 offset:8192
	ds_read_b32 v35, v35 offset:256
	v_fma_f16 v25, v25, 2.0, -v40
	v_fma_f16 v16, v16, 2.0, -v46
	s_waitcnt lgkmcnt(4)
	v_lshrrev_b32_e32 v44, 16, v43
	v_fma_f16 v32, v16, s2, v25
	v_mul_f16_sdwa v46, v44, v29 dst_sel:DWORD dst_unused:UNUSED_PAD src0_sel:DWORD src1_sel:WORD_1
	v_fma_f16 v13, v13, 2.0, -v20
	v_fma_f16 v32, v21, s1, v32
	v_fma_f16 v46, v38, v29, -v46
	v_mul_f16_sdwa v38, v38, v29 dst_sel:DWORD dst_unused:UNUSED_PAD src0_sel:DWORD src1_sel:WORD_1
	v_fma_f16 v21, v21, s2, v13
	v_fma_f16 v29, v44, v29, v38
	v_fma_f16 v16, v16, s2, v21
	v_mul_f16_sdwa v21, v46, v33 dst_sel:DWORD dst_unused:UNUSED_PAD src0_sel:DWORD src1_sel:WORD_1
	v_mul_f16_sdwa v38, v29, v33 dst_sel:DWORD dst_unused:UNUSED_PAD src0_sel:DWORD src1_sel:WORD_1
	v_fma_f16 v21, v33, v29, v21
	v_fma_f16 v38, v33, v46, -v38
	v_mul_f16_e32 v29, v16, v21
	v_mul_f16_e32 v21, v32, v21
	v_fma_f16 v10, v10, 2.0, -v23
	v_mul_lo_u32 v23, v4, v2
	v_mul_lo_u32 v2, v6, v2
	v_fma_f16 v29, v32, v38, v29
	v_fma_f16 v21, v16, v38, -v21
	v_lshrrev_b32_e32 v38, 10, v2
	v_and_b32_e32 v44, 63, v2
	v_lshrrev_b32_e32 v2, 4, v2
	v_lshrrev_b32_e32 v46, 10, v27
	;; [unrolled: 1-line block ×4, first 2 shown]
	v_and_b32_e32 v33, 63, v23
	v_and_b32_e32 v38, 0xfc, v38
	;; [unrolled: 1-line block ×6, first 2 shown]
	v_lshl_add_u32 v33, v33, 2, 0
	v_add_u32_e32 v38, s0, v38
	v_lshl_add_u32 v44, v44, 2, 0
	v_add_u32_e32 v2, s0, v2
	v_add_u32_e32 v46, s0, v46
	;; [unrolled: 1-line block ×4, first 2 shown]
	ds_read_b32 v49, v33 offset:8192
	ds_read_u16 v33, v33 offset:8194
	ds_read_b32 v38, v38 offset:512
	ds_read_b32 v44, v44 offset:8192
	ds_read_b32 v2, v2 offset:256
	ds_read_b32 v46, v46 offset:512
	ds_read_b32 v27, v27 offset:256
	ds_read_b32 v47, v47 offset:512
	s_waitcnt lgkmcnt(7)
	v_lshrrev_b32_e32 v50, 16, v49
	v_mul_f16_sdwa v51, v50, v35 dst_sel:DWORD dst_unused:UNUSED_PAD src0_sel:DWORD src1_sel:WORD_1
	v_fma_f16 v51, v42, v35, -v51
	v_mul_f16_sdwa v42, v42, v35 dst_sel:DWORD dst_unused:UNUSED_PAD src0_sel:DWORD src1_sel:WORD_1
	v_fma_f16 v30, v30, 2.0, -v11
	v_fma_f16 v35, v50, v35, v42
	v_fma_f16 v14, v14, 2.0, -v34
	v_fma_f16 v12, v15, 2.0, -v12
	v_mul_f16_sdwa v15, v51, v41 dst_sel:DWORD dst_unused:UNUSED_PAD src0_sel:DWORD src1_sel:WORD_1
	v_sub_f16_e32 v10, v30, v10
	v_mul_f16_sdwa v42, v35, v41 dst_sel:DWORD dst_unused:UNUSED_PAD src0_sel:DWORD src1_sel:WORD_1
	v_sub_f16_e32 v12, v14, v12
	v_fma_f16 v15, v41, v35, v15
	v_fma_f16 v42, v41, v51, -v42
	v_mul_f16_e32 v35, v12, v15
	v_mul_f16_e32 v15, v10, v15
	v_fma_f16 v41, v12, v42, -v15
	v_fma_f16 v15, v40, 2.0, -v48
	s_waitcnt lgkmcnt(4)
	v_lshrrev_b32_e32 v40, 16, v44
	v_fma_f16 v35, v10, v42, v35
	s_waitcnt lgkmcnt(3)
	v_mul_f16_sdwa v42, v40, v2 dst_sel:DWORD dst_unused:UNUSED_PAD src0_sel:DWORD src1_sel:WORD_1
	v_fma_f16 v42, v44, v2, -v42
	v_mul_f16_sdwa v44, v44, v2 dst_sel:DWORD dst_unused:UNUSED_PAD src0_sel:DWORD src1_sel:WORD_1
	v_fma_f16 v2, v40, v2, v44
	v_fma_f16 v20, v20, 2.0, -v22
	v_mul_f16_sdwa v22, v42, v38 dst_sel:DWORD dst_unused:UNUSED_PAD src0_sel:DWORD src1_sel:WORD_1
	v_mul_f16_sdwa v40, v2, v38 dst_sel:DWORD dst_unused:UNUSED_PAD src0_sel:DWORD src1_sel:WORD_1
	v_fma_f16 v2, v38, v2, v22
	v_fma_f16 v40, v38, v42, -v40
	v_mul_f16_e32 v22, v20, v2
	v_fma_f16 v22, v15, v40, v22
	v_mul_f16_e32 v2, v15, v2
	s_waitcnt lgkmcnt(1)
	v_mul_f16_sdwa v15, v45, v27 dst_sel:DWORD dst_unused:UNUSED_PAD src0_sel:DWORD src1_sel:WORD_1
	v_fma_f16 v20, v20, v40, -v2
	v_fma_f16 v2, v11, 2.0, -v17
	v_mul_f16_sdwa v11, v36, v27 dst_sel:DWORD dst_unused:UNUSED_PAD src0_sel:DWORD src1_sel:WORD_1
	v_fma_f16 v15, v36, v27, v15
	v_fma_f16 v11, v45, v27, -v11
	v_mul_f16_sdwa v17, v15, v46 dst_sel:DWORD dst_unused:UNUSED_PAD src0_sel:DWORD src1_sel:WORD_1
	v_fma_f16 v17, v46, v11, -v17
	v_mul_f16_sdwa v11, v11, v46 dst_sel:DWORD dst_unused:UNUSED_PAD src0_sel:DWORD src1_sel:WORD_1
	v_fma_f16 v27, v34, 2.0, -v37
	v_fma_f16 v11, v46, v15, v11
	v_mul_f16_e32 v15, v27, v11
	v_fma_f16 v34, v2, v17, v15
	v_mul_f16_e32 v2, v2, v11
	v_lshrrev_b32_e32 v11, 4, v26
	v_and_b32_e32 v11, 0xfc, v11
	v_add_u32_e32 v11, s0, v11
	ds_read_b32 v11, v11 offset:256
	v_lshrrev_b32_e32 v15, 10, v23
	v_lshrrev_b32_e32 v23, 4, v23
	v_and_b32_e32 v15, 0xfc, v15
	v_and_b32_e32 v23, 0xfc, v23
	v_add_u32_e32 v15, s0, v15
	v_add_u32_e32 v23, s0, v23
	v_fma_f16 v17, v27, v17, -v2
	v_fma_f16 v2, v25, 2.0, -v32
	ds_read_b32 v15, v15 offset:512
	ds_read_b32 v23, v23 offset:256
	s_waitcnt lgkmcnt(2)
	v_mul_f16_sdwa v25, v39, v11 dst_sel:DWORD dst_unused:UNUSED_PAD src0_sel:DWORD src1_sel:WORD_1
	v_fma_f16 v25, v43, v11, -v25
	v_mul_f16_sdwa v26, v43, v11 dst_sel:DWORD dst_unused:UNUSED_PAD src0_sel:DWORD src1_sel:WORD_1
	v_fma_f16 v11, v39, v11, v26
	v_fma_f16 v13, v13, 2.0, -v16
	v_mul_f16_sdwa v16, v25, v47 dst_sel:DWORD dst_unused:UNUSED_PAD src0_sel:DWORD src1_sel:WORD_1
	v_mul_f16_sdwa v26, v11, v47 dst_sel:DWORD dst_unused:UNUSED_PAD src0_sel:DWORD src1_sel:WORD_1
	v_fma_f16 v11, v47, v11, v16
	v_fma_f16 v26, v47, v25, -v26
	v_mul_f16_e32 v16, v13, v11
	v_fma_f16 v16, v2, v26, v16
	v_mul_f16_e32 v2, v2, v11
	s_waitcnt lgkmcnt(0)
	v_mul_f16_sdwa v11, v49, v23 dst_sel:DWORD dst_unused:UNUSED_PAD src0_sel:DWORD src1_sel:WORD_1
	v_fma_f16 v25, v13, v26, -v2
	v_fma_f16 v2, v30, 2.0, -v10
	v_mul_f16_sdwa v10, v33, v23 dst_sel:DWORD dst_unused:UNUSED_PAD src0_sel:DWORD src1_sel:WORD_1
	v_fma_f16 v11, v33, v23, v11
	v_fma_f16 v10, v49, v23, -v10
	v_mul_f16_sdwa v13, v11, v15 dst_sel:DWORD dst_unused:UNUSED_PAD src0_sel:DWORD src1_sel:WORD_1
	v_fma_f16 v13, v15, v10, -v13
	v_mul_f16_sdwa v10, v10, v15 dst_sel:DWORD dst_unused:UNUSED_PAD src0_sel:DWORD src1_sel:WORD_1
	v_fma_f16 v12, v14, 2.0, -v12
	v_fma_f16 v10, v15, v11, v10
	v_mul_f16_e32 v11, v12, v10
	v_fma_f16 v23, v2, v13, v11
	v_mul_f16_e32 v2, v2, v10
	v_mad_u64_u32 v[10:11], s[0:1], s14, v8, 0
	v_fma_f16 v26, v12, v13, -v2
	v_mov_b32_e32 v2, v11
	v_mad_u64_u32 v[12:13], s[0:1], s15, v8, v[2:3]
	v_mov_b32_e32 v11, v12
	v_mad_u64_u32 v[12:13], s[0:1], s12, v4, 0
	v_mov_b32_e32 v2, v13
	v_mad_u64_u32 v[14:15], s[0:1], s13, v4, v[2:3]
	v_mov_b32_e32 v13, v14
	v_lshl_add_u64 v[0:1], v[10:11], 2, v[0:1]
	v_lshl_add_u64 v[10:11], v[12:13], 2, v[0:1]
	v_pack_b32_f16 v2, v26, v23
	global_store_dword v[10:11], v2, off
	v_mad_u64_u32 v[10:11], s[0:1], s12, v9, 0
	v_mov_b32_e32 v2, v11
	v_mad_u64_u32 v[8:9], s[0:1], s13, v9, v[2:3]
	v_mov_b32_e32 v11, v8
	v_lshl_add_u64 v[8:9], v[10:11], 2, v[0:1]
	v_pack_b32_f16 v2, v25, v16
	global_store_dword v[8:9], v2, off
	v_mad_u64_u32 v[8:9], s[0:1], s12, v7, 0
	v_mov_b32_e32 v2, v9
	v_mad_u64_u32 v[10:11], s[0:1], s13, v7, v[2:3]
	v_mov_b32_e32 v9, v10
	v_lshl_add_u64 v[8:9], v[8:9], 2, v[0:1]
	v_pack_b32_f16 v2, v17, v34
	global_store_dword v[8:9], v2, off
	v_mad_u64_u32 v[8:9], s[0:1], s12, v6, 0
	v_mov_b32_e32 v2, v9
	v_mad_u64_u32 v[6:7], s[0:1], s13, v6, v[2:3]
	v_mov_b32_e32 v9, v6
	v_lshl_add_u64 v[6:7], v[8:9], 2, v[0:1]
	v_pack_b32_f16 v2, v20, v22
	global_store_dword v[6:7], v2, off
	v_mad_u64_u32 v[6:7], s[0:1], s12, v5, 0
	v_mov_b32_e32 v2, v7
	v_mad_u64_u32 v[8:9], s[0:1], s13, v5, v[2:3]
	v_mov_b32_e32 v7, v8
	v_lshl_add_u64 v[6:7], v[6:7], 2, v[0:1]
	v_pack_b32_f16 v2, v41, v35
	global_store_dword v[6:7], v2, off
	v_or_b32_e32 v6, 0x50, v4
	v_mad_u64_u32 v[4:5], s[0:1], s12, v6, 0
	v_mov_b32_e32 v2, v5
	v_mad_u64_u32 v[6:7], s[0:1], s13, v6, v[2:3]
	v_mov_b32_e32 v5, v6
	v_lshl_add_u64 v[4:5], v[4:5], 2, v[0:1]
	v_pack_b32_f16 v2, v21, v29
	global_store_dword v[4:5], v2, off
	v_mad_u64_u32 v[4:5], s[0:1], s12, v19, 0
	v_mov_b32_e32 v2, v5
	v_mad_u64_u32 v[6:7], s[0:1], s13, v19, v[2:3]
	v_mov_b32_e32 v5, v6
	v_lshl_add_u64 v[4:5], v[4:5], 2, v[0:1]
	v_pack_b32_f16 v2, v18, v31
	global_store_dword v[4:5], v2, off
	;; [unrolled: 7-line block ×3, first 2 shown]
.LBB0_21:
	s_endpgm
	.section	.rodata,"a",@progbits
	.p2align	6, 0x0
	.amdhsa_kernel fft_rtc_fwd_len128_factors_16_8_wgs_256_tpt_16_half_ip_CI_sbcc_twdbase6_3step_dirReg
		.amdhsa_group_segment_fixed_size 0
		.amdhsa_private_segment_fixed_size 0
		.amdhsa_kernarg_size 96
		.amdhsa_user_sgpr_count 2
		.amdhsa_user_sgpr_dispatch_ptr 0
		.amdhsa_user_sgpr_queue_ptr 0
		.amdhsa_user_sgpr_kernarg_segment_ptr 1
		.amdhsa_user_sgpr_dispatch_id 0
		.amdhsa_user_sgpr_kernarg_preload_length 0
		.amdhsa_user_sgpr_kernarg_preload_offset 0
		.amdhsa_user_sgpr_private_segment_size 0
		.amdhsa_uses_dynamic_stack 0
		.amdhsa_enable_private_segment 0
		.amdhsa_system_sgpr_workgroup_id_x 1
		.amdhsa_system_sgpr_workgroup_id_y 0
		.amdhsa_system_sgpr_workgroup_id_z 0
		.amdhsa_system_sgpr_workgroup_info 0
		.amdhsa_system_vgpr_workitem_id 0
		.amdhsa_next_free_vgpr 57
		.amdhsa_next_free_sgpr 41
		.amdhsa_accum_offset 60
		.amdhsa_reserve_vcc 1
		.amdhsa_float_round_mode_32 0
		.amdhsa_float_round_mode_16_64 0
		.amdhsa_float_denorm_mode_32 3
		.amdhsa_float_denorm_mode_16_64 3
		.amdhsa_dx10_clamp 1
		.amdhsa_ieee_mode 1
		.amdhsa_fp16_overflow 0
		.amdhsa_tg_split 0
		.amdhsa_exception_fp_ieee_invalid_op 0
		.amdhsa_exception_fp_denorm_src 0
		.amdhsa_exception_fp_ieee_div_zero 0
		.amdhsa_exception_fp_ieee_overflow 0
		.amdhsa_exception_fp_ieee_underflow 0
		.amdhsa_exception_fp_ieee_inexact 0
		.amdhsa_exception_int_div_zero 0
	.end_amdhsa_kernel
	.text
.Lfunc_end0:
	.size	fft_rtc_fwd_len128_factors_16_8_wgs_256_tpt_16_half_ip_CI_sbcc_twdbase6_3step_dirReg, .Lfunc_end0-fft_rtc_fwd_len128_factors_16_8_wgs_256_tpt_16_half_ip_CI_sbcc_twdbase6_3step_dirReg
                                        ; -- End function
	.section	.AMDGPU.csdata,"",@progbits
; Kernel info:
; codeLenInByte = 6716
; NumSgprs: 47
; NumVgprs: 57
; NumAgprs: 0
; TotalNumVgprs: 57
; ScratchSize: 0
; MemoryBound: 0
; FloatMode: 240
; IeeeMode: 1
; LDSByteSize: 0 bytes/workgroup (compile time only)
; SGPRBlocks: 5
; VGPRBlocks: 7
; NumSGPRsForWavesPerEU: 47
; NumVGPRsForWavesPerEU: 57
; AccumOffset: 60
; Occupancy: 8
; WaveLimiterHint : 1
; COMPUTE_PGM_RSRC2:SCRATCH_EN: 0
; COMPUTE_PGM_RSRC2:USER_SGPR: 2
; COMPUTE_PGM_RSRC2:TRAP_HANDLER: 0
; COMPUTE_PGM_RSRC2:TGID_X_EN: 1
; COMPUTE_PGM_RSRC2:TGID_Y_EN: 0
; COMPUTE_PGM_RSRC2:TGID_Z_EN: 0
; COMPUTE_PGM_RSRC2:TIDIG_COMP_CNT: 0
; COMPUTE_PGM_RSRC3_GFX90A:ACCUM_OFFSET: 14
; COMPUTE_PGM_RSRC3_GFX90A:TG_SPLIT: 0
	.text
	.p2alignl 6, 3212836864
	.fill 256, 4, 3212836864
	.type	__hip_cuid_f87b588411e2e967,@object ; @__hip_cuid_f87b588411e2e967
	.section	.bss,"aw",@nobits
	.globl	__hip_cuid_f87b588411e2e967
__hip_cuid_f87b588411e2e967:
	.byte	0                               ; 0x0
	.size	__hip_cuid_f87b588411e2e967, 1

	.ident	"AMD clang version 19.0.0git (https://github.com/RadeonOpenCompute/llvm-project roc-6.4.0 25133 c7fe45cf4b819c5991fe208aaa96edf142730f1d)"
	.section	".note.GNU-stack","",@progbits
	.addrsig
	.addrsig_sym __hip_cuid_f87b588411e2e967
	.amdgpu_metadata
---
amdhsa.kernels:
  - .agpr_count:     0
    .args:
      - .actual_access:  read_only
        .address_space:  global
        .offset:         0
        .size:           8
        .value_kind:     global_buffer
      - .address_space:  global
        .offset:         8
        .size:           8
        .value_kind:     global_buffer
      - .offset:         16
        .size:           8
        .value_kind:     by_value
      - .actual_access:  read_only
        .address_space:  global
        .offset:         24
        .size:           8
        .value_kind:     global_buffer
      - .actual_access:  read_only
        .address_space:  global
        .offset:         32
        .size:           8
        .value_kind:     global_buffer
      - .offset:         40
        .size:           8
        .value_kind:     by_value
      - .actual_access:  read_only
        .address_space:  global
        .offset:         48
        .size:           8
        .value_kind:     global_buffer
      - .actual_access:  read_only
        .address_space:  global
        .offset:         56
        .size:           8
        .value_kind:     global_buffer
      - .offset:         64
        .size:           4
        .value_kind:     by_value
      - .actual_access:  read_only
        .address_space:  global
        .offset:         72
        .size:           8
        .value_kind:     global_buffer
      - .actual_access:  read_only
        .address_space:  global
        .offset:         80
        .size:           8
        .value_kind:     global_buffer
      - .address_space:  global
        .offset:         88
        .size:           8
        .value_kind:     global_buffer
    .group_segment_fixed_size: 0
    .kernarg_segment_align: 8
    .kernarg_segment_size: 96
    .language:       OpenCL C
    .language_version:
      - 2
      - 0
    .max_flat_workgroup_size: 256
    .name:           fft_rtc_fwd_len128_factors_16_8_wgs_256_tpt_16_half_ip_CI_sbcc_twdbase6_3step_dirReg
    .private_segment_fixed_size: 0
    .sgpr_count:     47
    .sgpr_spill_count: 0
    .symbol:         fft_rtc_fwd_len128_factors_16_8_wgs_256_tpt_16_half_ip_CI_sbcc_twdbase6_3step_dirReg.kd
    .uniform_work_group_size: 1
    .uses_dynamic_stack: false
    .vgpr_count:     57
    .vgpr_spill_count: 0
    .wavefront_size: 64
amdhsa.target:   amdgcn-amd-amdhsa--gfx950
amdhsa.version:
  - 1
  - 2
...

	.end_amdgpu_metadata
